;; amdgpu-corpus repo=ROCm/rocFFT kind=compiled arch=gfx906 opt=O3
	.text
	.amdgcn_target "amdgcn-amd-amdhsa--gfx906"
	.amdhsa_code_object_version 6
	.protected	fft_rtc_fwd_len1950_factors_13_5_10_3_wgs_195_tpt_195_sp_ip_CI_sbrr_dirReg ; -- Begin function fft_rtc_fwd_len1950_factors_13_5_10_3_wgs_195_tpt_195_sp_ip_CI_sbrr_dirReg
	.globl	fft_rtc_fwd_len1950_factors_13_5_10_3_wgs_195_tpt_195_sp_ip_CI_sbrr_dirReg
	.p2align	8
	.type	fft_rtc_fwd_len1950_factors_13_5_10_3_wgs_195_tpt_195_sp_ip_CI_sbrr_dirReg,@function
fft_rtc_fwd_len1950_factors_13_5_10_3_wgs_195_tpt_195_sp_ip_CI_sbrr_dirReg: ; @fft_rtc_fwd_len1950_factors_13_5_10_3_wgs_195_tpt_195_sp_ip_CI_sbrr_dirReg
; %bb.0:
	s_load_dwordx2 s[2:3], s[4:5], 0x18
	s_load_dwordx4 s[8:11], s[4:5], 0x0
	s_load_dwordx2 s[14:15], s[4:5], 0x50
	v_mul_u32_u24_e32 v1, 0x151, v0
	v_add_u32_sdwa v5, s6, v1 dst_sel:DWORD dst_unused:UNUSED_PAD src0_sel:DWORD src1_sel:WORD_1
	s_waitcnt lgkmcnt(0)
	s_load_dwordx2 s[12:13], s[2:3], 0x0
	v_cmp_lt_u64_e64 s[0:1], s[10:11], 2
	v_mov_b32_e32 v3, 0
	v_mov_b32_e32 v1, 0
	;; [unrolled: 1-line block ×3, first 2 shown]
	s_and_b64 vcc, exec, s[0:1]
	v_mov_b32_e32 v2, 0
	s_cbranch_vccnz .LBB0_8
; %bb.1:
	s_load_dwordx2 s[0:1], s[4:5], 0x10
	s_add_u32 s6, s2, 8
	s_addc_u32 s7, s3, 0
	v_mov_b32_e32 v1, 0
	v_mov_b32_e32 v2, 0
	s_waitcnt lgkmcnt(0)
	s_add_u32 s16, s0, 8
	s_addc_u32 s17, s1, 0
	s_mov_b64 s[18:19], 1
.LBB0_2:                                ; =>This Inner Loop Header: Depth=1
	s_load_dwordx2 s[20:21], s[16:17], 0x0
                                        ; implicit-def: $vgpr7_vgpr8
	s_waitcnt lgkmcnt(0)
	v_or_b32_e32 v4, s21, v6
	v_cmp_ne_u64_e32 vcc, 0, v[3:4]
	s_and_saveexec_b64 s[0:1], vcc
	s_xor_b64 s[22:23], exec, s[0:1]
	s_cbranch_execz .LBB0_4
; %bb.3:                                ;   in Loop: Header=BB0_2 Depth=1
	v_cvt_f32_u32_e32 v4, s20
	v_cvt_f32_u32_e32 v7, s21
	s_sub_u32 s0, 0, s20
	s_subb_u32 s1, 0, s21
	v_mac_f32_e32 v4, 0x4f800000, v7
	v_rcp_f32_e32 v4, v4
	v_mul_f32_e32 v4, 0x5f7ffffc, v4
	v_mul_f32_e32 v7, 0x2f800000, v4
	v_trunc_f32_e32 v7, v7
	v_mac_f32_e32 v4, 0xcf800000, v7
	v_cvt_u32_f32_e32 v7, v7
	v_cvt_u32_f32_e32 v4, v4
	v_mul_lo_u32 v8, s0, v7
	v_mul_hi_u32 v9, s0, v4
	v_mul_lo_u32 v11, s1, v4
	v_mul_lo_u32 v10, s0, v4
	v_add_u32_e32 v8, v9, v8
	v_add_u32_e32 v8, v8, v11
	v_mul_hi_u32 v9, v4, v10
	v_mul_lo_u32 v11, v4, v8
	v_mul_hi_u32 v13, v4, v8
	v_mul_hi_u32 v12, v7, v10
	v_mul_lo_u32 v10, v7, v10
	v_mul_hi_u32 v14, v7, v8
	v_add_co_u32_e32 v9, vcc, v9, v11
	v_addc_co_u32_e32 v11, vcc, 0, v13, vcc
	v_mul_lo_u32 v8, v7, v8
	v_add_co_u32_e32 v9, vcc, v9, v10
	v_addc_co_u32_e32 v9, vcc, v11, v12, vcc
	v_addc_co_u32_e32 v10, vcc, 0, v14, vcc
	v_add_co_u32_e32 v8, vcc, v9, v8
	v_addc_co_u32_e32 v9, vcc, 0, v10, vcc
	v_add_co_u32_e32 v4, vcc, v4, v8
	v_addc_co_u32_e32 v7, vcc, v7, v9, vcc
	v_mul_lo_u32 v8, s0, v7
	v_mul_hi_u32 v9, s0, v4
	v_mul_lo_u32 v10, s1, v4
	v_mul_lo_u32 v11, s0, v4
	v_add_u32_e32 v8, v9, v8
	v_add_u32_e32 v8, v8, v10
	v_mul_lo_u32 v12, v4, v8
	v_mul_hi_u32 v13, v4, v11
	v_mul_hi_u32 v14, v4, v8
	;; [unrolled: 1-line block ×3, first 2 shown]
	v_mul_lo_u32 v11, v7, v11
	v_mul_hi_u32 v9, v7, v8
	v_add_co_u32_e32 v12, vcc, v13, v12
	v_addc_co_u32_e32 v13, vcc, 0, v14, vcc
	v_mul_lo_u32 v8, v7, v8
	v_add_co_u32_e32 v11, vcc, v12, v11
	v_addc_co_u32_e32 v10, vcc, v13, v10, vcc
	v_addc_co_u32_e32 v9, vcc, 0, v9, vcc
	v_add_co_u32_e32 v8, vcc, v10, v8
	v_addc_co_u32_e32 v9, vcc, 0, v9, vcc
	v_add_co_u32_e32 v4, vcc, v4, v8
	v_addc_co_u32_e32 v9, vcc, v7, v9, vcc
	v_mad_u64_u32 v[7:8], s[0:1], v5, v9, 0
	v_mul_hi_u32 v10, v5, v4
	v_add_co_u32_e32 v11, vcc, v10, v7
	v_addc_co_u32_e32 v12, vcc, 0, v8, vcc
	v_mad_u64_u32 v[7:8], s[0:1], v6, v4, 0
	v_mad_u64_u32 v[9:10], s[0:1], v6, v9, 0
	v_add_co_u32_e32 v4, vcc, v11, v7
	v_addc_co_u32_e32 v4, vcc, v12, v8, vcc
	v_addc_co_u32_e32 v7, vcc, 0, v10, vcc
	v_add_co_u32_e32 v4, vcc, v4, v9
	v_addc_co_u32_e32 v9, vcc, 0, v7, vcc
	v_mul_lo_u32 v10, s21, v4
	v_mul_lo_u32 v11, s20, v9
	v_mad_u64_u32 v[7:8], s[0:1], s20, v4, 0
	v_add3_u32 v8, v8, v11, v10
	v_sub_u32_e32 v10, v6, v8
	v_mov_b32_e32 v11, s21
	v_sub_co_u32_e32 v7, vcc, v5, v7
	v_subb_co_u32_e64 v10, s[0:1], v10, v11, vcc
	v_subrev_co_u32_e64 v11, s[0:1], s20, v7
	v_subbrev_co_u32_e64 v10, s[0:1], 0, v10, s[0:1]
	v_cmp_le_u32_e64 s[0:1], s21, v10
	v_cndmask_b32_e64 v12, 0, -1, s[0:1]
	v_cmp_le_u32_e64 s[0:1], s20, v11
	v_cndmask_b32_e64 v11, 0, -1, s[0:1]
	v_cmp_eq_u32_e64 s[0:1], s21, v10
	v_cndmask_b32_e64 v10, v12, v11, s[0:1]
	v_add_co_u32_e64 v11, s[0:1], 2, v4
	v_addc_co_u32_e64 v12, s[0:1], 0, v9, s[0:1]
	v_add_co_u32_e64 v13, s[0:1], 1, v4
	v_addc_co_u32_e64 v14, s[0:1], 0, v9, s[0:1]
	v_subb_co_u32_e32 v8, vcc, v6, v8, vcc
	v_cmp_ne_u32_e64 s[0:1], 0, v10
	v_cmp_le_u32_e32 vcc, s21, v8
	v_cndmask_b32_e64 v10, v14, v12, s[0:1]
	v_cndmask_b32_e64 v12, 0, -1, vcc
	v_cmp_le_u32_e32 vcc, s20, v7
	v_cndmask_b32_e64 v7, 0, -1, vcc
	v_cmp_eq_u32_e32 vcc, s21, v8
	v_cndmask_b32_e32 v7, v12, v7, vcc
	v_cmp_ne_u32_e32 vcc, 0, v7
	v_cndmask_b32_e64 v7, v13, v11, s[0:1]
	v_cndmask_b32_e32 v8, v9, v10, vcc
	v_cndmask_b32_e32 v7, v4, v7, vcc
.LBB0_4:                                ;   in Loop: Header=BB0_2 Depth=1
	s_andn2_saveexec_b64 s[0:1], s[22:23]
	s_cbranch_execz .LBB0_6
; %bb.5:                                ;   in Loop: Header=BB0_2 Depth=1
	v_cvt_f32_u32_e32 v4, s20
	s_sub_i32 s22, 0, s20
	v_rcp_iflag_f32_e32 v4, v4
	v_mul_f32_e32 v4, 0x4f7ffffe, v4
	v_cvt_u32_f32_e32 v4, v4
	v_mul_lo_u32 v7, s22, v4
	v_mul_hi_u32 v7, v4, v7
	v_add_u32_e32 v4, v4, v7
	v_mul_hi_u32 v4, v5, v4
	v_mul_lo_u32 v7, v4, s20
	v_add_u32_e32 v8, 1, v4
	v_sub_u32_e32 v7, v5, v7
	v_subrev_u32_e32 v9, s20, v7
	v_cmp_le_u32_e32 vcc, s20, v7
	v_cndmask_b32_e32 v7, v7, v9, vcc
	v_cndmask_b32_e32 v4, v4, v8, vcc
	v_add_u32_e32 v8, 1, v4
	v_cmp_le_u32_e32 vcc, s20, v7
	v_cndmask_b32_e32 v7, v4, v8, vcc
	v_mov_b32_e32 v8, v3
.LBB0_6:                                ;   in Loop: Header=BB0_2 Depth=1
	s_or_b64 exec, exec, s[0:1]
	v_mul_lo_u32 v4, v8, s20
	v_mul_lo_u32 v11, v7, s21
	v_mad_u64_u32 v[9:10], s[0:1], v7, s20, 0
	s_load_dwordx2 s[0:1], s[6:7], 0x0
	s_add_u32 s18, s18, 1
	v_add3_u32 v4, v10, v11, v4
	v_sub_co_u32_e32 v5, vcc, v5, v9
	v_subb_co_u32_e32 v4, vcc, v6, v4, vcc
	s_waitcnt lgkmcnt(0)
	v_mul_lo_u32 v4, s0, v4
	v_mul_lo_u32 v6, s1, v5
	v_mad_u64_u32 v[1:2], s[0:1], s0, v5, v[1:2]
	s_addc_u32 s19, s19, 0
	s_add_u32 s6, s6, 8
	v_add3_u32 v2, v6, v2, v4
	v_mov_b32_e32 v4, s10
	v_mov_b32_e32 v5, s11
	s_addc_u32 s7, s7, 0
	v_cmp_ge_u64_e32 vcc, s[18:19], v[4:5]
	s_add_u32 s16, s16, 8
	s_addc_u32 s17, s17, 0
	s_cbranch_vccnz .LBB0_9
; %bb.7:                                ;   in Loop: Header=BB0_2 Depth=1
	v_mov_b32_e32 v5, v7
	v_mov_b32_e32 v6, v8
	s_branch .LBB0_2
.LBB0_8:
	v_mov_b32_e32 v8, v6
	v_mov_b32_e32 v7, v5
.LBB0_9:
	s_lshl_b64 s[0:1], s[10:11], 3
	s_add_u32 s0, s2, s0
	s_addc_u32 s1, s3, s1
	s_load_dwordx2 s[2:3], s[0:1], 0x0
	s_load_dwordx2 s[6:7], s[4:5], 0x20
                                        ; implicit-def: $vgpr19
                                        ; implicit-def: $vgpr21
                                        ; implicit-def: $vgpr25
                                        ; implicit-def: $vgpr27
                                        ; implicit-def: $vgpr29
                                        ; implicit-def: $vgpr23
                                        ; implicit-def: $vgpr9
                                        ; implicit-def: $vgpr11
                                        ; implicit-def: $vgpr31
	s_waitcnt lgkmcnt(0)
	v_mad_u64_u32 v[2:3], s[0:1], s2, v7, v[1:2]
	s_mov_b32 s0, 0x1501502
	v_mul_hi_u32 v1, v0, s0
	v_mul_lo_u32 v4, s2, v8
	v_mul_lo_u32 v5, s3, v7
	v_cmp_gt_u64_e32 vcc, s[6:7], v[7:8]
	v_mul_u32_u24_e32 v1, 0xc3, v1
	v_sub_u32_e32 v32, v0, v1
	v_add3_u32 v3, v5, v3, v4
	s_movk_i32 s0, 0x96
	v_cmp_gt_u32_e64 s[0:1], s0, v32
	v_lshlrev_b64 v[12:13], 3, v[2:3]
	s_and_b64 s[2:3], vcc, s[0:1]
	v_mov_b32_e32 v1, 0
	v_mov_b32_e32 v0, 0
                                        ; implicit-def: $vgpr3
                                        ; implicit-def: $vgpr5
                                        ; implicit-def: $vgpr7
	s_and_saveexec_b64 s[4:5], s[2:3]
	s_cbranch_execz .LBB0_11
; %bb.10:
	v_mad_u64_u32 v[0:1], s[2:3], s12, v32, 0
	v_add_u32_e32 v5, 0x96, v32
	v_mov_b32_e32 v4, s15
	v_mad_u64_u32 v[1:2], s[2:3], s13, v32, v[1:2]
	v_mad_u64_u32 v[2:3], s[2:3], s12, v5, 0
	v_add_co_u32_e64 v8, s[2:3], s14, v12
	v_addc_co_u32_e64 v9, s[2:3], v4, v13, s[2:3]
	v_mad_u64_u32 v[3:4], s[2:3], s13, v5, v[3:4]
	v_add_u32_e32 v6, 0x12c, v32
	v_mad_u64_u32 v[4:5], s[2:3], s12, v6, 0
	v_lshlrev_b64 v[0:1], 3, v[0:1]
	v_add_co_u32_e64 v14, s[2:3], v8, v0
	v_addc_co_u32_e64 v15, s[2:3], v9, v1, s[2:3]
	v_lshlrev_b64 v[0:1], 3, v[2:3]
	v_mov_b32_e32 v2, v5
	v_mad_u64_u32 v[2:3], s[2:3], s13, v6, v[2:3]
	v_add_u32_e32 v3, 0x1c2, v32
	v_mad_u64_u32 v[6:7], s[2:3], s12, v3, 0
	v_add_co_u32_e64 v16, s[2:3], v8, v0
	v_mov_b32_e32 v5, v2
	v_mov_b32_e32 v2, v7
	v_addc_co_u32_e64 v17, s[2:3], v9, v1, s[2:3]
	v_lshlrev_b64 v[0:1], 3, v[4:5]
	v_mad_u64_u32 v[2:3], s[2:3], s13, v3, v[2:3]
	v_add_u32_e32 v5, 0x258, v32
	v_mad_u64_u32 v[3:4], s[2:3], s12, v5, 0
	v_add_co_u32_e64 v33, s[2:3], v8, v0
	v_mov_b32_e32 v7, v2
	v_mov_b32_e32 v2, v4
	v_addc_co_u32_e64 v34, s[2:3], v9, v1, s[2:3]
	v_lshlrev_b64 v[0:1], 3, v[6:7]
	v_mad_u64_u32 v[4:5], s[2:3], s13, v5, v[2:3]
	v_add_u32_e32 v7, 0x2ee, v32
	v_mad_u64_u32 v[5:6], s[2:3], s12, v7, 0
	v_add_co_u32_e64 v35, s[2:3], v8, v0
	v_mov_b32_e32 v2, v6
	v_addc_co_u32_e64 v36, s[2:3], v9, v1, s[2:3]
	v_lshlrev_b64 v[0:1], 3, v[3:4]
	v_mad_u64_u32 v[2:3], s[2:3], s13, v7, v[2:3]
	v_add_u32_e32 v7, 0x384, v32
	v_mad_u64_u32 v[3:4], s[2:3], s12, v7, 0
	v_add_co_u32_e64 v37, s[2:3], v8, v0
	v_mov_b32_e32 v6, v2
	v_mov_b32_e32 v2, v4
	v_addc_co_u32_e64 v38, s[2:3], v9, v1, s[2:3]
	v_lshlrev_b64 v[0:1], 3, v[5:6]
	v_mad_u64_u32 v[4:5], s[2:3], s13, v7, v[2:3]
	v_add_u32_e32 v7, 0x41a, v32
	v_mad_u64_u32 v[5:6], s[2:3], s12, v7, 0
	v_add_co_u32_e64 v39, s[2:3], v8, v0
	;; [unrolled: 15-line block ×4, first 2 shown]
	v_mov_b32_e32 v2, v6
	v_addc_co_u32_e64 v48, s[2:3], v9, v1, s[2:3]
	v_lshlrev_b64 v[0:1], 3, v[3:4]
	v_mad_u64_u32 v[2:3], s[2:3], s13, v7, v[2:3]
	v_add_u32_e32 v7, 0x708, v32
	v_mad_u64_u32 v[3:4], s[2:3], s12, v7, 0
	v_add_co_u32_e64 v49, s[2:3], v8, v0
	v_mov_b32_e32 v6, v2
	v_mov_b32_e32 v2, v4
	v_addc_co_u32_e64 v50, s[2:3], v9, v1, s[2:3]
	v_lshlrev_b64 v[0:1], 3, v[5:6]
	v_mad_u64_u32 v[4:5], s[2:3], s13, v7, v[2:3]
	v_add_co_u32_e64 v51, s[2:3], v8, v0
	v_addc_co_u32_e64 v52, s[2:3], v9, v1, s[2:3]
	v_lshlrev_b64 v[0:1], 3, v[3:4]
	v_add_co_u32_e64 v53, s[2:3], v8, v0
	v_addc_co_u32_e64 v54, s[2:3], v9, v1, s[2:3]
	global_load_dwordx2 v[0:1], v[14:15], off
	global_load_dwordx2 v[18:19], v[16:17], off
	;; [unrolled: 1-line block ×13, first 2 shown]
.LBB0_11:
	s_or_b64 exec, exec, s[4:5]
	s_waitcnt vmcnt(0)
	v_add_f32_e32 v45, v18, v2
	v_mul_f32_e32 v48, 0x3f116cb1, v45
	v_add_f32_e32 v46, v20, v4
	v_sub_f32_e32 v33, v19, v3
	v_mov_b32_e32 v14, v48
	v_mul_f32_e32 v52, 0xbeb58ec6, v46
	v_fmac_f32_e32 v14, 0xbf52af12, v33
	v_sub_f32_e32 v34, v21, v5
	v_mov_b32_e32 v15, v52
	v_sub_f32_e32 v49, v18, v2
	v_add_f32_e32 v14, v0, v14
	v_fmac_f32_e32 v15, 0xbf6f5d39, v34
	s_mov_b32 s4, 0x3f116cb1
	v_add_f32_e32 v35, v19, v3
	v_mul_f32_e32 v56, 0xbf52af12, v49
	v_sub_f32_e32 v50, v20, v4
	v_add_f32_e32 v14, v14, v15
	v_fma_f32 v15, v35, s4, -v56
	s_mov_b32 s5, 0xbeb58ec6
	v_add_f32_e32 v37, v21, v5
	v_mul_f32_e32 v57, 0xbf6f5d39, v50
	v_add_f32_e32 v47, v24, v6
	v_add_f32_e32 v15, v1, v15
	v_fma_f32 v16, v37, s5, -v57
	v_mul_f32_e32 v55, 0xbf788fa5, v47
	v_add_f32_e32 v15, v15, v16
	v_sub_f32_e32 v36, v25, v7
	v_mov_b32_e32 v16, v55
	v_sub_f32_e32 v53, v24, v6
	v_fmac_f32_e32 v16, 0xbe750f2a, v36
	s_mov_b32 s6, 0xbf788fa5
	v_add_f32_e32 v39, v25, v7
	v_mul_f32_e32 v62, 0xbe750f2a, v53
	v_add_f32_e32 v51, v26, v8
	v_add_f32_e32 v14, v14, v16
	v_fma_f32 v16, v39, s6, -v62
	v_mul_f32_e32 v60, 0xbf3f9e67, v51
	v_add_f32_e32 v15, v15, v16
	v_sub_f32_e32 v38, v27, v9
	v_mov_b32_e32 v16, v60
	v_sub_f32_e32 v58, v26, v8
	v_fmac_f32_e32 v16, 0x3f29c268, v38
	;; [unrolled: 12-line block ×3, first 2 shown]
	s_mov_b32 s10, 0x3df6dbef
	v_add_f32_e32 v43, v29, v11
	v_mul_f32_e32 v67, 0x3f7e222b, v63
	v_add_f32_e32 v59, v22, v30
	v_add_f32_e32 v14, v14, v16
	v_fma_f32 v16, v43, s10, -v67
	v_mul_f32_e32 v66, 0x3f62ad3f, v59
	v_add_f32_e32 v15, v15, v16
	v_sub_f32_e32 v42, v23, v31
	v_mov_b32_e32 v16, v66
	v_sub_f32_e32 v61, v22, v30
	s_mov_b32 s11, 0x3f62ad3f
	v_fmac_f32_e32 v16, 0x3eedf032, v42
	v_add_f32_e32 v44, v23, v31
	v_mul_f32_e32 v68, 0x3eedf032, v61
	v_add_f32_e32 v14, v14, v16
	v_fma_f32 v16, v44, s11, -v68
	v_mul_f32_e32 v69, 0x3df6dbef, v45
	v_add_f32_e32 v15, v15, v16
	v_mov_b32_e32 v16, v69
	v_mul_f32_e32 v70, 0xbf788fa5, v46
	v_fmac_f32_e32 v16, 0xbf7e222b, v33
	v_mov_b32_e32 v17, v70
	v_add_f32_e32 v16, v0, v16
	v_fmac_f32_e32 v17, 0xbe750f2a, v34
	v_mul_f32_e32 v75, 0xbf7e222b, v49
	v_add_f32_e32 v16, v16, v17
	v_fma_f32 v17, v35, s10, -v75
	v_mul_f32_e32 v76, 0xbe750f2a, v50
	v_add_f32_e32 v17, v1, v17
	v_fma_f32 v71, v37, s6, -v76
	v_add_f32_e32 v17, v17, v71
	v_mul_f32_e32 v71, 0xbeb58ec6, v47
	v_mov_b32_e32 v72, v71
	v_fmac_f32_e32 v72, 0x3f6f5d39, v36
	v_mul_f32_e32 v77, 0x3f6f5d39, v53
	v_add_f32_e32 v16, v16, v72
	v_fma_f32 v72, v39, s5, -v77
	v_add_f32_e32 v17, v17, v72
	v_mul_f32_e32 v72, 0x3f62ad3f, v51
	v_mov_b32_e32 v73, v72
	v_fmac_f32_e32 v73, 0x3eedf032, v38
	;; [unrolled: 7-line block ×4, first 2 shown]
	v_add_f32_e32 v16, v16, v80
	v_mul_f32_e32 v80, 0xbf29c268, v61
	v_fma_f32 v81, v44, s7, -v80
	v_add_f32_e32 v17, v17, v81
	s_and_saveexec_b64 s[2:3], s[0:1]
	s_cbranch_execz .LBB0_13
; %bb.12:
	v_add_f32_e32 v18, v0, v18
	v_add_f32_e32 v19, v1, v19
	;; [unrolled: 1-line block ×13, first 2 shown]
	v_mul_f32_e32 v24, 0xbe750f2a, v49
	v_add_f32_e32 v19, v19, v31
	v_add_f32_e32 v10, v10, v18
	v_mov_b32_e32 v20, v24
	v_mul_f32_e32 v22, 0x3eedf032, v50
	v_add_f32_e32 v11, v11, v19
	v_add_f32_e32 v8, v8, v10
	v_fmac_f32_e32 v20, 0xbf788fa5, v35
	v_mov_b32_e32 v21, v22
	v_add_f32_e32 v9, v9, v11
	v_add_f32_e32 v6, v6, v8
	v_mul_f32_e32 v83, 0xbf29c268, v49
	v_add_f32_e32 v20, v1, v20
	v_fmac_f32_e32 v21, 0x3f62ad3f, v37
	v_mul_f32_e32 v23, 0xbf29c268, v53
	v_add_f32_e32 v7, v7, v9
	v_add_f32_e32 v4, v4, v6
	v_mov_b32_e32 v6, v83
	v_mul_f32_e32 v84, 0x3f7e222b, v50
	v_add_f32_e32 v20, v20, v21
	v_mov_b32_e32 v21, v23
	v_add_f32_e32 v5, v5, v7
	v_fmac_f32_e32 v6, 0xbf3f9e67, v35
	v_mov_b32_e32 v7, v84
	v_fmac_f32_e32 v21, 0xbf3f9e67, v39
	v_mul_f32_e32 v25, 0x3f52af12, v58
	v_mul_f32_e32 v27, 0xbf788fa5, v45
	v_add_f32_e32 v6, v1, v6
	v_fmac_f32_e32 v7, 0x3df6dbef, v37
	v_mul_f32_e32 v85, 0xbf52af12, v53
	v_add_f32_e32 v20, v20, v21
	v_mov_b32_e32 v21, v25
	v_mov_b32_e32 v18, v27
	v_mul_f32_e32 v28, 0x3f62ad3f, v46
	v_add_f32_e32 v6, v6, v7
	v_mov_b32_e32 v7, v85
	v_fmac_f32_e32 v21, 0x3f116cb1, v41
	v_mul_f32_e32 v26, 0xbf6f5d39, v63
	v_fmac_f32_e32 v18, 0x3e750f2a, v33
	v_mov_b32_e32 v10, v28
	v_mul_f32_e32 v29, 0xbf3f9e67, v47
	v_fmac_f32_e32 v7, 0x3f116cb1, v39
	v_mul_f32_e32 v86, 0x3e750f2a, v58
	v_add_f32_e32 v20, v20, v21
	v_mov_b32_e32 v21, v26
	v_add_f32_e32 v18, v0, v18
	v_fmac_f32_e32 v10, 0xbeedf032, v34
	v_mov_b32_e32 v11, v29
	v_mul_f32_e32 v30, 0x3f116cb1, v51
	v_mul_f32_e32 v81, 0x3f7e222b, v61
	v_add_f32_e32 v6, v6, v7
	v_mov_b32_e32 v7, v86
	v_fmac_f32_e32 v21, 0xbeb58ec6, v43
	v_add_f32_e32 v10, v18, v10
	v_fmac_f32_e32 v11, 0x3f29c268, v36
	v_mov_b32_e32 v8, v30
	v_mul_f32_e32 v31, 0xbeb58ec6, v54
	v_add_f32_e32 v2, v2, v4
	v_mov_b32_e32 v4, v81
	v_fmac_f32_e32 v7, 0xbf788fa5, v41
	v_mul_f32_e32 v87, 0x3eedf032, v63
	v_add_f32_e32 v20, v20, v21
	v_add_f32_e32 v10, v10, v11
	v_fmac_f32_e32 v8, 0xbf52af12, v38
	v_mov_b32_e32 v9, v31
	v_fmac_f32_e32 v4, 0x3df6dbef, v44
	v_mul_f32_e32 v82, 0x3df6dbef, v59
	v_add_f32_e32 v6, v6, v7
	v_mov_b32_e32 v7, v87
	v_add_f32_e32 v8, v10, v8
	v_fmac_f32_e32 v9, 0x3f6f5d39, v40
	v_add_f32_e32 v3, v3, v5
	v_add_f32_e32 v5, v20, v4
	v_mov_b32_e32 v4, v82
	v_fmac_f32_e32 v7, 0x3f62ad3f, v43
	v_mul_f32_e32 v88, 0xbf3f9e67, v45
	v_add_f32_e32 v8, v8, v9
	v_fmac_f32_e32 v4, 0xbf7e222b, v42
	v_add_f32_e32 v6, v6, v7
	v_mov_b32_e32 v7, v88
	v_mul_f32_e32 v89, 0x3df6dbef, v46
	v_add_f32_e32 v4, v8, v4
	v_fmac_f32_e32 v7, 0x3f29c268, v33
	v_mov_b32_e32 v8, v89
	v_add_f32_e32 v7, v0, v7
	v_fmac_f32_e32 v8, 0xbf7e222b, v34
	v_mul_f32_e32 v90, 0x3f116cb1, v47
	v_add_f32_e32 v7, v7, v8
	v_mov_b32_e32 v8, v90
	v_fmac_f32_e32 v8, 0x3f52af12, v36
	v_mul_f32_e32 v91, 0xbf788fa5, v51
	v_add_f32_e32 v7, v7, v8
	v_mov_b32_e32 v8, v91
	;; [unrolled: 4-line block ×6, first 2 shown]
	v_mul_f32_e32 v96, 0x3f29c268, v50
	v_fmac_f32_e32 v8, 0xbeb58ec6, v35
	v_mov_b32_e32 v9, v96
	v_add_f32_e32 v8, v1, v8
	v_fmac_f32_e32 v9, 0xbf3f9e67, v37
	v_mul_f32_e32 v97, 0x3eedf032, v53
	v_add_f32_e32 v8, v8, v9
	v_mov_b32_e32 v9, v97
	v_fmac_f32_e32 v9, 0x3f62ad3f, v39
	v_mul_f32_e32 v98, 0xbf7e222b, v58
	v_add_f32_e32 v8, v8, v9
	v_mov_b32_e32 v9, v98
	;; [unrolled: 4-line block ×4, first 2 shown]
	v_mul_f32_e32 v101, 0xbf3f9e67, v46
	v_fmac_f32_e32 v9, 0x3f6f5d39, v33
	v_mov_b32_e32 v10, v101
	v_add_f32_e32 v9, v0, v9
	v_fmac_f32_e32 v10, 0xbf29c268, v34
	v_mul_f32_e32 v102, 0x3f62ad3f, v47
	v_add_f32_e32 v9, v9, v10
	v_mov_b32_e32 v10, v102
	v_fmac_f32_e32 v10, 0xbeedf032, v36
	v_mul_f32_e32 v103, 0x3df6dbef, v51
	v_add_f32_e32 v9, v9, v10
	v_mov_b32_e32 v10, v103
	;; [unrolled: 4-line block ×5, first 2 shown]
	v_fmac_f32_e32 v8, 0xbf52af12, v42
	v_add_f32_e32 v8, v10, v8
	v_mul_f32_e32 v10, 0x3df6dbef, v35
	v_mul_f32_e32 v18, 0xbf7e222b, v33
	v_add_f32_e32 v10, v10, v75
	v_mul_f32_e32 v11, 0xbf788fa5, v37
	v_sub_f32_e32 v18, v69, v18
	v_mul_f32_e32 v19, 0xbe750f2a, v34
	v_add_f32_e32 v11, v11, v76
	v_add_f32_e32 v10, v1, v10
	v_sub_f32_e32 v19, v70, v19
	v_add_f32_e32 v18, v0, v18
	v_add_f32_e32 v10, v10, v11
	v_mul_f32_e32 v11, 0xbeb58ec6, v39
	v_add_f32_e32 v18, v18, v19
	v_mul_f32_e32 v19, 0x3f6f5d39, v36
	v_add_f32_e32 v11, v11, v77
	v_sub_f32_e32 v19, v71, v19
	v_add_f32_e32 v10, v10, v11
	v_mul_f32_e32 v11, 0x3f62ad3f, v41
	v_add_f32_e32 v18, v18, v19
	v_mul_f32_e32 v19, 0x3eedf032, v38
	v_add_f32_e32 v11, v11, v78
	v_sub_f32_e32 v19, v72, v19
	;; [unrolled: 6-line block ×4, first 2 shown]
	v_add_f32_e32 v11, v10, v11
	v_add_f32_e32 v10, v18, v19
	v_mul_f32_e32 v18, 0x3f116cb1, v35
	v_mul_f32_e32 v20, 0xbf52af12, v33
	v_add_f32_e32 v18, v18, v56
	v_mul_f32_e32 v19, 0xbeb58ec6, v37
	v_sub_f32_e32 v20, v48, v20
	v_mul_f32_e32 v21, 0xbf6f5d39, v34
	v_add_f32_e32 v19, v19, v57
	v_add_f32_e32 v18, v1, v18
	v_sub_f32_e32 v21, v52, v21
	v_add_f32_e32 v20, v0, v20
	v_add_f32_e32 v18, v18, v19
	v_mul_f32_e32 v19, 0xbf788fa5, v39
	v_add_f32_e32 v20, v20, v21
	v_mul_f32_e32 v21, 0xbe750f2a, v36
	v_add_f32_e32 v19, v19, v62
	v_sub_f32_e32 v21, v55, v21
	v_add_f32_e32 v18, v18, v19
	v_mul_f32_e32 v19, 0xbf3f9e67, v41
	v_add_f32_e32 v20, v20, v21
	v_mul_f32_e32 v21, 0x3f29c268, v38
	v_add_f32_e32 v19, v19, v65
	v_sub_f32_e32 v21, v60, v21
	;; [unrolled: 6-line block ×4, first 2 shown]
	v_mul_f32_e32 v48, 0xbeedf032, v49
	v_add_f32_e32 v19, v18, v19
	v_add_f32_e32 v18, v20, v21
	v_mov_b32_e32 v20, v48
	v_mul_f32_e32 v49, 0xbf52af12, v50
	v_fmac_f32_e32 v20, 0x3f62ad3f, v35
	v_mov_b32_e32 v21, v49
	v_add_f32_e32 v20, v1, v20
	v_fmac_f32_e32 v21, 0x3f116cb1, v37
	v_mul_f32_e32 v50, 0xbf7e222b, v53
	v_fma_f32 v24, v35, s6, -v24
	v_add_f32_e32 v20, v20, v21
	v_mov_b32_e32 v21, v50
	v_add_f32_e32 v24, v1, v24
	v_fma_f32 v22, v37, s11, -v22
	v_fmac_f32_e32 v21, 0x3df6dbef, v39
	v_mul_f32_e32 v52, 0xbf6f5d39, v58
	v_add_f32_e32 v22, v24, v22
	v_fma_f32 v23, v39, s7, -v23
	v_add_f32_e32 v20, v20, v21
	v_mov_b32_e32 v21, v52
	v_add_f32_e32 v22, v22, v23
	v_fma_f32 v23, v41, s4, -v25
	v_fmac_f32_e32 v21, 0xbeb58ec6, v41
	v_mul_f32_e32 v53, 0xbf29c268, v63
	v_add_f32_e32 v22, v22, v23
	v_fma_f32 v23, v43, s5, -v26
	v_fmac_f32_e32 v27, 0xbe750f2a, v33
	v_add_f32_e32 v20, v20, v21
	v_mov_b32_e32 v21, v53
	v_add_f32_e32 v22, v22, v23
	v_add_f32_e32 v23, v0, v27
	v_fmac_f32_e32 v28, 0x3eedf032, v34
	v_fmac_f32_e32 v21, 0xbf3f9e67, v43
	v_mul_f32_e32 v45, 0x3f62ad3f, v45
	v_add_f32_e32 v23, v23, v28
	v_fmac_f32_e32 v29, 0xbf29c268, v36
	v_add_f32_e32 v20, v20, v21
	v_mov_b32_e32 v21, v45
	v_mul_f32_e32 v46, 0x3f116cb1, v46
	v_add_f32_e32 v23, v23, v29
	v_fmac_f32_e32 v30, 0x3f52af12, v38
	v_fmac_f32_e32 v21, 0x3eedf032, v33
	v_mov_b32_e32 v55, v46
	v_add_f32_e32 v23, v23, v30
	v_fmac_f32_e32 v31, 0xbf6f5d39, v40
	v_add_f32_e32 v21, v0, v21
	v_fmac_f32_e32 v55, 0x3f52af12, v34
	v_mul_f32_e32 v47, 0x3df6dbef, v47
	v_add_f32_e32 v24, v23, v31
	v_fma_f32 v23, v44, s10, -v81
	v_fmac_f32_e32 v82, 0x3f7e222b, v42
	v_add_f32_e32 v21, v21, v55
	v_mov_b32_e32 v55, v47
	v_add_f32_e32 v23, v22, v23
	v_add_f32_e32 v22, v24, v82
	v_fma_f32 v24, v35, s7, -v83
	v_fma_f32 v26, v35, s5, -v95
	v_fmac_f32_e32 v55, 0x3f7e222b, v36
	v_mul_f32_e32 v51, 0xbeb58ec6, v51
	v_add_f32_e32 v24, v1, v24
	v_fma_f32 v25, v37, s10, -v84
	v_add_f32_e32 v26, v1, v26
	v_fma_f32 v27, v37, s7, -v96
	v_add_f32_e32 v21, v21, v55
	v_mov_b32_e32 v55, v51
	v_add_f32_e32 v24, v24, v25
	v_fma_f32 v25, v39, s4, -v85
	v_add_f32_e32 v26, v26, v27
	v_fma_f32 v27, v39, s11, -v97
	v_fmac_f32_e32 v55, 0x3f6f5d39, v38
	v_mul_f32_e32 v54, 0xbf3f9e67, v54
	v_add_f32_e32 v24, v24, v25
	v_fma_f32 v25, v41, s6, -v86
	v_add_f32_e32 v26, v26, v27
	v_fma_f32 v27, v41, s10, -v98
	v_add_f32_e32 v21, v21, v55
	v_mov_b32_e32 v55, v54
	v_add_f32_e32 v24, v24, v25
	v_fma_f32 v25, v43, s11, -v87
	v_add_f32_e32 v26, v26, v27
	v_fma_f32 v27, v43, s6, -v99
	v_fma_f32 v28, v35, s11, -v48
	v_fmac_f32_e32 v55, 0x3f29c268, v40
	v_mul_f32_e32 v56, 0xbe750f2a, v61
	v_add_f32_e32 v24, v24, v25
	v_fma_f32 v25, v44, s5, -v93
	v_fmac_f32_e32 v88, 0xbf29c268, v33
	v_add_f32_e32 v26, v26, v27
	v_fma_f32 v27, v44, s4, -v105
	v_fmac_f32_e32 v100, 0xbf6f5d39, v33
	v_add_f32_e32 v1, v1, v28
	v_fma_f32 v28, v37, s4, -v49
	v_fmac_f32_e32 v45, 0xbeedf032, v33
	v_add_f32_e32 v55, v21, v55
	v_mov_b32_e32 v21, v56
	v_add_f32_e32 v25, v24, v25
	v_add_f32_e32 v24, v0, v88
	v_fmac_f32_e32 v89, 0x3f7e222b, v34
	v_add_f32_e32 v27, v26, v27
	v_add_f32_e32 v26, v0, v100
	v_fmac_f32_e32 v101, 0x3f29c268, v34
	v_add_f32_e32 v1, v1, v28
	v_fma_f32 v28, v39, s10, -v50
	v_add_f32_e32 v0, v0, v45
	v_fmac_f32_e32 v46, 0xbf52af12, v34
	v_fmac_f32_e32 v21, 0xbf788fa5, v44
	v_mul_f32_e32 v57, 0xbf788fa5, v59
	v_add_f32_e32 v24, v24, v89
	v_fmac_f32_e32 v90, 0xbf52af12, v36
	v_add_f32_e32 v26, v26, v101
	v_fmac_f32_e32 v102, 0x3eedf032, v36
	v_add_f32_e32 v1, v1, v28
	v_fma_f32 v28, v41, s5, -v52
	v_add_f32_e32 v0, v0, v46
	v_fmac_f32_e32 v47, 0xbf7e222b, v36
	v_add_f32_e32 v21, v20, v21
	v_mov_b32_e32 v20, v57
	v_add_f32_e32 v24, v24, v90
	v_fmac_f32_e32 v91, 0x3e750f2a, v38
	v_add_f32_e32 v26, v26, v102
	v_fmac_f32_e32 v103, 0xbf7e222b, v38
	v_add_f32_e32 v1, v1, v28
	v_fma_f32 v28, v43, s7, -v53
	v_add_f32_e32 v0, v0, v47
	v_fmac_f32_e32 v51, 0xbf6f5d39, v38
	v_fmac_f32_e32 v20, 0x3e750f2a, v42
	v_add_f32_e32 v24, v24, v91
	v_fmac_f32_e32 v92, 0x3eedf032, v40
	v_add_f32_e32 v26, v26, v103
	;; [unrolled: 2-line block ×3, first 2 shown]
	v_fma_f32 v28, v44, s6, -v56
	v_add_f32_e32 v0, v0, v51
	v_fmac_f32_e32 v54, 0xbf29c268, v40
	s_movk_i32 s0, 0x68
	v_add_f32_e32 v20, v55, v20
	v_add_f32_e32 v24, v24, v92
	v_fmac_f32_e32 v94, 0xbf6f5d39, v42
	v_add_f32_e32 v26, v26, v104
	v_fmac_f32_e32 v106, 0x3f52af12, v42
	v_add_f32_e32 v1, v1, v28
	v_add_f32_e32 v0, v0, v54
	v_fmac_f32_e32 v57, 0xbe750f2a, v42
	v_mad_u32_u24 v28, v32, s0, 0
	v_add_f32_e32 v24, v24, v94
	v_add_f32_e32 v26, v26, v106
	;; [unrolled: 1-line block ×3, first 2 shown]
	ds_write2_b64 v28, v[2:3], v[20:21] offset1:1
	ds_write2_b64 v28, v[18:19], v[10:11] offset0:2 offset1:3
	ds_write2_b64 v28, v[8:9], v[6:7] offset0:4 offset1:5
	;; [unrolled: 1-line block ×5, first 2 shown]
	ds_write_b64 v28, v[0:1] offset:96
.LBB0_13:
	s_or_b64 exec, exec, s[2:3]
	s_movk_i32 s0, 0x4f
	v_mul_lo_u16_sdwa v0, v32, s0 dst_sel:DWORD dst_unused:UNUSED_PAD src0_sel:BYTE_0 src1_sel:DWORD
	v_lshrrev_b16_e32 v27, 10, v0
	v_mul_lo_u16_e32 v0, 13, v27
	v_sub_u16_e32 v29, v32, v0
	v_mov_b32_e32 v0, 5
	v_lshlrev_b32_sdwa v8, v0, v29 dst_sel:DWORD dst_unused:UNUSED_PAD src0_sel:DWORD src1_sel:BYTE_0
	v_add_u32_e32 v28, 0xc3, v32
	s_movk_i32 s0, 0x4ec5
	s_waitcnt lgkmcnt(0)
	s_barrier
	global_load_dwordx4 v[0:3], v8, s[8:9] offset:16
	global_load_dwordx4 v[4:7], v8, s[8:9]
	v_mul_u32_u24_sdwa v8, v28, s0 dst_sel:DWORD dst_unused:UNUSED_PAD src0_sel:WORD_0 src1_sel:DWORD
	v_lshrrev_b32_e32 v30, 18, v8
	v_mul_lo_u16_e32 v8, 13, v30
	v_sub_u16_e32 v31, v28, v8
	v_lshlrev_b32_e32 v22, 5, v31
	global_load_dwordx4 v[8:11], v22, s[8:9]
	global_load_dwordx4 v[18:21], v22, s[8:9] offset:16
	v_lshl_add_u32 v22, v32, 3, 0
	v_add_u32_e32 v49, 0xc00, v22
	v_add_u32_e32 v50, 0x1800, v22
	ds_read2_b64 v[33:36], v49 offset0:6 offset1:201
	ds_read2_b64 v[23:26], v22 offset1:195
	v_add_u32_e32 v51, 0x2400, v22
	v_add_u32_e32 v52, 0x3000, v22
	ds_read2_b64 v[37:40], v50 offset0:12 offset1:207
	ds_read2_b64 v[41:44], v51 offset0:18 offset1:213
	;; [unrolled: 1-line block ×3, first 2 shown]
	v_mul_u32_u24_e32 v27, 0x208, v27
	s_waitcnt vmcnt(0) lgkmcnt(0)
	s_barrier
	s_movk_i32 s0, 0xfd
	s_mov_b32 s3, 0x3f737871
	s_mov_b32 s2, 0x3f167918
	;; [unrolled: 1-line block ×3, first 2 shown]
	v_mul_f32_e32 v56, v1, v41
	v_mul_f32_e32 v53, v5, v34
	;; [unrolled: 1-line block ×16, first 2 shown]
	v_fma_f32 v21, v4, v33, -v53
	v_fma_f32 v33, v6, v37, -v5
	;; [unrolled: 1-line block ×3, first 2 shown]
	v_fmac_f32_e32 v56, v0, v42
	v_fma_f32 v5, v2, v45, -v1
	v_add_f32_e32 v0, v23, v21
	v_add_f32_e32 v1, v33, v7
	v_fmac_f32_e32 v54, v4, v34
	v_fmac_f32_e32 v57, v2, v46
	;; [unrolled: 1-line block ×3, first 2 shown]
	v_fma_f32 v36, v43, v18, -v11
	v_fmac_f32_e32 v60, v44, v18
	v_sub_f32_e32 v2, v21, v33
	v_sub_f32_e32 v4, v5, v7
	v_add_f32_e32 v18, v0, v33
	v_fma_f32 v0, -0.5, v1, v23
	v_fmac_f32_e32 v55, v6, v38
	v_fma_f32 v34, v8, v35, -v3
	v_sub_f32_e32 v3, v54, v57
	v_add_f32_e32 v1, v2, v4
	v_mov_b32_e32 v4, v0
	v_fma_f32 v35, v39, v10, -v9
	v_sub_f32_e32 v9, v55, v56
	v_fmac_f32_e32 v0, 0xbf737871, v3
	v_fmac_f32_e32 v4, 0x3f737871, v3
	v_add_f32_e32 v6, v21, v5
	v_add_f32_e32 v11, v24, v54
	v_fmac_f32_e32 v0, 0xbf167918, v9
	v_fmac_f32_e32 v4, 0x3f167918, v9
	v_fma_f32 v2, -0.5, v6, v23
	v_fmac_f32_e32 v0, 0x3e9e377a, v1
	v_fmac_f32_e32 v4, 0x3e9e377a, v1
	v_add_f32_e32 v1, v11, v55
	v_mov_b32_e32 v6, v2
	v_add_f32_e32 v1, v1, v56
	v_fmac_f32_e32 v59, v40, v10
	v_sub_f32_e32 v8, v33, v21
	v_sub_f32_e32 v10, v7, v5
	v_fmac_f32_e32 v2, 0x3f737871, v9
	v_fmac_f32_e32 v6, 0xbf737871, v9
	v_add_f32_e32 v9, v1, v57
	v_add_f32_e32 v1, v55, v56
	v_add_f32_e32 v10, v8, v10
	v_add_f32_e32 v8, v18, v7
	v_fmac_f32_e32 v2, 0xbf167918, v3
	v_fmac_f32_e32 v6, 0x3f167918, v3
	v_fma_f32 v1, -0.5, v1, v24
	v_add_f32_e32 v8, v8, v5
	v_fmac_f32_e32 v2, 0x3e9e377a, v10
	v_fmac_f32_e32 v6, 0x3e9e377a, v10
	v_sub_f32_e32 v10, v21, v5
	v_mov_b32_e32 v5, v1
	v_fmac_f32_e32 v5, 0xbf737871, v10
	v_sub_f32_e32 v11, v33, v7
	v_sub_f32_e32 v3, v54, v55
	;; [unrolled: 1-line block ×3, first 2 shown]
	v_fmac_f32_e32 v1, 0x3f737871, v10
	v_fmac_f32_e32 v5, 0xbf167918, v11
	v_add_f32_e32 v3, v3, v7
	v_fmac_f32_e32 v1, 0x3f167918, v11
	v_fmac_f32_e32 v5, 0x3e9e377a, v3
	;; [unrolled: 1-line block ×3, first 2 shown]
	v_add_f32_e32 v3, v54, v57
	v_fma_f32 v3, -0.5, v3, v24
	v_mov_b32_e32 v7, v3
	v_fma_f32 v37, v47, v20, -v19
	v_fmac_f32_e32 v7, 0x3f737871, v11
	v_sub_f32_e32 v18, v55, v54
	v_sub_f32_e32 v19, v56, v57
	v_fmac_f32_e32 v3, 0xbf737871, v11
	v_fmac_f32_e32 v7, 0xbf167918, v10
	v_add_f32_e32 v18, v18, v19
	v_fmac_f32_e32 v3, 0x3f167918, v10
	v_add_f32_e32 v11, v35, v36
	v_fmac_f32_e32 v61, v48, v20
	v_fmac_f32_e32 v7, 0x3e9e377a, v18
	;; [unrolled: 1-line block ×3, first 2 shown]
	v_fma_f32 v18, -0.5, v11, v25
	v_sub_f32_e32 v11, v58, v61
	v_mov_b32_e32 v20, v18
	v_fmac_f32_e32 v20, 0x3f737871, v11
	v_sub_f32_e32 v19, v59, v60
	v_sub_f32_e32 v21, v34, v35
	v_sub_f32_e32 v23, v37, v36
	v_fmac_f32_e32 v18, 0xbf737871, v11
	v_fmac_f32_e32 v20, 0x3f167918, v19
	v_add_f32_e32 v21, v21, v23
	v_fmac_f32_e32 v18, 0xbf167918, v19
	v_fmac_f32_e32 v20, 0x3e9e377a, v21
	;; [unrolled: 1-line block ×3, first 2 shown]
	v_add_f32_e32 v21, v34, v37
	v_add_f32_e32 v10, v25, v34
	v_fma_f32 v25, -0.5, v21, v25
	v_mov_b32_e32 v23, v25
	v_fmac_f32_e32 v23, 0xbf737871, v19
	v_sub_f32_e32 v21, v35, v34
	v_sub_f32_e32 v24, v36, v37
	v_fmac_f32_e32 v25, 0x3f737871, v19
	v_add_f32_e32 v19, v59, v60
	v_fmac_f32_e32 v23, 0x3f167918, v11
	v_add_f32_e32 v21, v21, v24
	v_fmac_f32_e32 v25, 0xbf167918, v11
	v_fma_f32 v19, -0.5, v19, v26
	v_fmac_f32_e32 v23, 0x3e9e377a, v21
	v_fmac_f32_e32 v25, 0x3e9e377a, v21
	v_sub_f32_e32 v33, v34, v37
	v_mov_b32_e32 v21, v19
	v_add_f32_e32 v10, v10, v35
	v_fmac_f32_e32 v21, 0xbf737871, v33
	v_sub_f32_e32 v34, v35, v36
	v_sub_f32_e32 v24, v58, v59
	;; [unrolled: 1-line block ×3, first 2 shown]
	v_fmac_f32_e32 v19, 0x3f737871, v33
	v_fmac_f32_e32 v21, 0xbf167918, v34
	v_add_f32_e32 v24, v24, v35
	v_fmac_f32_e32 v19, 0x3f167918, v34
	v_fmac_f32_e32 v21, 0x3e9e377a, v24
	;; [unrolled: 1-line block ×3, first 2 shown]
	v_add_f32_e32 v24, v58, v61
	v_mov_b32_e32 v53, 3
	v_add_f32_e32 v11, v26, v58
	v_fmac_f32_e32 v26, -0.5, v24
	v_lshlrev_b32_sdwa v29, v53, v29 dst_sel:DWORD dst_unused:UNUSED_PAD src0_sel:DWORD src1_sel:BYTE_0
	v_add_f32_e32 v11, v11, v59
	v_mov_b32_e32 v24, v26
	v_add3_u32 v27, 0, v27, v29
	v_add_f32_e32 v10, v10, v36
	v_add_f32_e32 v11, v11, v60
	v_fmac_f32_e32 v24, 0x3f737871, v34
	v_sub_f32_e32 v35, v59, v58
	v_sub_f32_e32 v36, v60, v61
	v_fmac_f32_e32 v26, 0xbf737871, v34
	ds_write2_b64 v27, v[8:9], v[4:5] offset1:13
	ds_write2_b64 v27, v[6:7], v[2:3] offset0:26 offset1:39
	ds_write_b64 v27, v[0:1] offset:416
	v_mul_u32_u24_e32 v0, 0x208, v30
	v_lshlrev_b32_e32 v1, 3, v31
	v_add_f32_e32 v10, v10, v37
	v_add_f32_e32 v11, v11, v61
	v_fmac_f32_e32 v24, 0xbf167918, v33
	v_add_f32_e32 v35, v35, v36
	v_fmac_f32_e32 v26, 0x3f167918, v33
	v_add3_u32 v0, 0, v0, v1
	v_fmac_f32_e32 v24, 0x3e9e377a, v35
	v_fmac_f32_e32 v26, 0x3e9e377a, v35
	ds_write2_b64 v0, v[10:11], v[20:21] offset1:13
	ds_write2_b64 v0, v[23:24], v[25:26] offset0:26 offset1:39
	ds_write_b64 v0, v[18:19] offset:416
	v_mul_lo_u16_sdwa v0, v32, s0 dst_sel:DWORD dst_unused:UNUSED_PAD src0_sel:BYTE_0 src1_sel:DWORD
	v_lshrrev_b16_e32 v27, 14, v0
	v_mul_lo_u16_e32 v0, 0x41, v27
	v_sub_u16_e32 v31, v32, v0
	v_mov_b32_e32 v0, 9
	v_mul_u32_u24_sdwa v0, v31, v0 dst_sel:DWORD dst_unused:UNUSED_PAD src0_sel:BYTE_0 src1_sel:DWORD
	v_lshlrev_b32_e32 v23, 3, v0
	s_waitcnt lgkmcnt(0)
	s_barrier
	global_load_dwordx4 v[0:3], v23, s[8:9] offset:416
	global_load_dwordx4 v[4:7], v23, s[8:9] offset:432
	;; [unrolled: 1-line block ×4, first 2 shown]
	global_load_dwordx2 v[29:30], v23, s[8:9] offset:480
	ds_read2_b64 v[23:26], v22 offset1:195
	ds_read2_b64 v[33:36], v49 offset0:6 offset1:201
	ds_read2_b64 v[37:40], v50 offset0:12 offset1:207
	;; [unrolled: 1-line block ×4, first 2 shown]
	s_mov_b32 s0, 0xbf167918
	v_mul_u32_u24_e32 v27, 0x1450, v27
	s_waitcnt vmcnt(0) lgkmcnt(0)
	s_barrier
	v_mul_f32_e32 v49, v1, v26
	v_fma_f32 v49, v0, v25, -v49
	v_mul_f32_e32 v25, v1, v25
	v_fmac_f32_e32 v25, v0, v26
	v_mul_f32_e32 v0, v3, v34
	v_mul_f32_e32 v1, v3, v33
	v_fma_f32 v0, v2, v33, -v0
	v_fmac_f32_e32 v1, v2, v34
	v_mul_f32_e32 v2, v5, v36
	v_mul_f32_e32 v3, v5, v35
	v_fma_f32 v2, v4, v35, -v2
	;; [unrolled: 4-line block ×8, first 2 shown]
	v_fmac_f32_e32 v21, v48, v29
	v_add_f32_e32 v29, v4, v8
	v_fma_f32 v29, -0.5, v29, v23
	v_sub_f32_e32 v30, v1, v19
	v_mov_b32_e32 v33, v29
	v_fmac_f32_e32 v33, 0x3f737871, v30
	v_sub_f32_e32 v34, v5, v9
	v_sub_f32_e32 v35, v0, v4
	;; [unrolled: 1-line block ×3, first 2 shown]
	v_fmac_f32_e32 v29, 0xbf737871, v30
	v_fmac_f32_e32 v33, 0x3f167918, v34
	v_add_f32_e32 v35, v35, v36
	v_fmac_f32_e32 v29, 0xbf167918, v34
	v_fmac_f32_e32 v33, 0x3e9e377a, v35
	v_fmac_f32_e32 v29, 0x3e9e377a, v35
	v_add_f32_e32 v35, v0, v18
	v_fma_f32 v35, -0.5, v35, v23
	v_add_f32_e32 v26, v23, v0
	v_mov_b32_e32 v23, v35
	v_fmac_f32_e32 v23, 0xbf737871, v34
	v_sub_f32_e32 v36, v4, v0
	v_sub_f32_e32 v37, v8, v18
	v_fmac_f32_e32 v35, 0x3f737871, v34
	v_add_f32_e32 v34, v5, v9
	v_add_f32_e32 v26, v26, v4
	v_fmac_f32_e32 v23, 0x3f167918, v30
	v_add_f32_e32 v36, v36, v37
	v_fmac_f32_e32 v35, 0xbf167918, v30
	v_fma_f32 v34, -0.5, v34, v24
	v_add_f32_e32 v26, v26, v8
	v_fmac_f32_e32 v23, 0x3e9e377a, v36
	v_fmac_f32_e32 v35, 0x3e9e377a, v36
	v_sub_f32_e32 v0, v0, v18
	v_mov_b32_e32 v36, v34
	v_add_f32_e32 v26, v26, v18
	v_fmac_f32_e32 v36, 0xbf737871, v0
	v_sub_f32_e32 v4, v4, v8
	v_sub_f32_e32 v8, v1, v5
	;; [unrolled: 1-line block ×3, first 2 shown]
	v_fmac_f32_e32 v34, 0x3f737871, v0
	v_fmac_f32_e32 v36, 0xbf167918, v4
	v_add_f32_e32 v8, v8, v18
	v_fmac_f32_e32 v34, 0x3f167918, v4
	v_fmac_f32_e32 v36, 0x3e9e377a, v8
	;; [unrolled: 1-line block ×3, first 2 shown]
	v_add_f32_e32 v8, v1, v19
	v_fma_f32 v37, -0.5, v8, v24
	v_add_f32_e32 v30, v24, v1
	v_mov_b32_e32 v24, v37
	v_fmac_f32_e32 v24, 0x3f737871, v4
	v_fmac_f32_e32 v37, 0xbf737871, v4
	;; [unrolled: 1-line block ×4, first 2 shown]
	v_add_f32_e32 v0, v49, v2
	v_add_f32_e32 v0, v0, v6
	;; [unrolled: 1-line block ×7, first 2 shown]
	v_sub_f32_e32 v1, v5, v1
	v_sub_f32_e32 v5, v9, v19
	v_fma_f32 v9, -0.5, v0, v49
	v_add_f32_e32 v1, v1, v5
	v_sub_f32_e32 v0, v3, v21
	v_mov_b32_e32 v5, v9
	v_fmac_f32_e32 v24, 0x3e9e377a, v1
	v_fmac_f32_e32 v37, 0x3e9e377a, v1
	;; [unrolled: 1-line block ×3, first 2 shown]
	v_sub_f32_e32 v1, v7, v11
	v_sub_f32_e32 v4, v2, v6
	;; [unrolled: 1-line block ×3, first 2 shown]
	v_fmac_f32_e32 v9, 0xbf737871, v0
	v_fmac_f32_e32 v5, 0x3f167918, v1
	v_add_f32_e32 v4, v4, v8
	v_fmac_f32_e32 v9, 0xbf167918, v1
	v_fmac_f32_e32 v5, 0x3e9e377a, v4
	;; [unrolled: 1-line block ×3, first 2 shown]
	v_add_f32_e32 v4, v2, v20
	v_fmac_f32_e32 v49, -0.5, v4
	v_add_f32_e32 v30, v30, v19
	v_mov_b32_e32 v19, v49
	v_fmac_f32_e32 v19, 0xbf737871, v1
	v_fmac_f32_e32 v49, 0x3f737871, v1
	;; [unrolled: 1-line block ×4, first 2 shown]
	v_add_f32_e32 v0, v25, v3
	v_add_f32_e32 v0, v0, v7
	;; [unrolled: 1-line block ×5, first 2 shown]
	v_sub_f32_e32 v4, v6, v2
	v_sub_f32_e32 v8, v10, v20
	v_fma_f32 v39, -0.5, v0, v25
	v_add_f32_e32 v4, v4, v8
	v_sub_f32_e32 v0, v2, v20
	v_mov_b32_e32 v20, v39
	v_fmac_f32_e32 v19, 0x3e9e377a, v4
	v_fmac_f32_e32 v49, 0x3e9e377a, v4
	;; [unrolled: 1-line block ×3, first 2 shown]
	v_sub_f32_e32 v1, v6, v10
	v_sub_f32_e32 v2, v3, v7
	;; [unrolled: 1-line block ×3, first 2 shown]
	v_fmac_f32_e32 v39, 0x3f737871, v0
	v_fmac_f32_e32 v20, 0xbf167918, v1
	v_add_f32_e32 v2, v2, v4
	v_fmac_f32_e32 v39, 0x3f167918, v1
	v_fmac_f32_e32 v20, 0x3e9e377a, v2
	v_fmac_f32_e32 v39, 0x3e9e377a, v2
	v_add_f32_e32 v2, v3, v21
	v_fmac_f32_e32 v25, -0.5, v2
	v_mov_b32_e32 v10, v25
	v_fmac_f32_e32 v10, 0x3f737871, v1
	v_sub_f32_e32 v2, v7, v3
	v_sub_f32_e32 v3, v11, v21
	v_fmac_f32_e32 v10, 0xbf167918, v0
	v_add_f32_e32 v2, v2, v3
	v_fmac_f32_e32 v25, 0xbf737871, v1
	v_fmac_f32_e32 v10, 0x3e9e377a, v2
	;; [unrolled: 1-line block ×4, first 2 shown]
	v_mul_f32_e32 v21, 0x3f737871, v10
	v_mul_f32_e32 v1, 0x3e9e377a, v49
	v_fmac_f32_e32 v21, 0x3e9e377a, v19
	v_fma_f32 v40, v25, s3, -v1
	v_mul_f32_e32 v1, 0x3f4f1bbd, v9
	v_mul_f32_e32 v19, 0xbf737871, v19
	;; [unrolled: 1-line block ×3, first 2 shown]
	v_fma_f32 v41, v39, s2, -v1
	v_mul_f32_e32 v42, 0xbf167918, v5
	v_fmac_f32_e32 v19, 0x3e9e377a, v10
	v_mul_f32_e32 v10, 0x3f4f1bbd, v39
	v_add_f32_e32 v0, v26, v18
	v_fmac_f32_e32 v11, 0x3f4f1bbd, v5
	v_add_f32_e32 v8, v29, v41
	v_fmac_f32_e32 v42, 0x3f4f1bbd, v20
	v_mul_f32_e32 v7, 0x3e9e377a, v25
	v_fma_f32 v39, v9, s0, -v10
	v_sub_f32_e32 v10, v26, v18
	v_sub_f32_e32 v18, v29, v41
	v_lshlrev_b32_sdwa v29, v53, v31 dst_sel:DWORD dst_unused:UNUSED_PAD src0_sel:DWORD src1_sel:BYTE_0
	v_add_f32_e32 v2, v33, v11
	v_add_f32_e32 v1, v30, v38
	;; [unrolled: 1-line block ×3, first 2 shown]
	v_fma_f32 v43, v49, s1, -v7
	v_add3_u32 v27, 0, v27, v29
	v_add_f32_e32 v4, v23, v21
	v_add_f32_e32 v6, v35, v40
	;; [unrolled: 1-line block ×5, first 2 shown]
	v_sub_f32_e32 v20, v33, v11
	v_sub_f32_e32 v11, v30, v38
	ds_write2_b64 v27, v[0:1], v[2:3] offset1:65
	ds_write2_b64 v27, v[4:5], v[6:7] offset0:130 offset1:195
	v_add_u32_e32 v0, 0x800, v27
	v_sub_f32_e32 v23, v23, v21
	v_sub_f32_e32 v25, v35, v40
	;; [unrolled: 1-line block ×6, first 2 shown]
	ds_write2_b64 v0, v[8:9], v[10:11] offset0:4 offset1:69
	ds_write2_b64 v0, v[20:21], v[23:24] offset0:134 offset1:199
	v_add_u32_e32 v0, 0x1000, v27
	v_add_u32_e32 v4, 0x1400, v22
	ds_write2_b64 v0, v[25:26], v[18:19] offset0:8 offset1:73
	s_waitcnt lgkmcnt(0)
	s_barrier
	ds_read2_b64 v[8:11], v4 offset0:10 offset1:205
	v_add_u32_e32 v4, 0x2800, v22
	ds_read2_b64 v[0:3], v22 offset1:195
	ds_read2_b64 v[4:7], v4 offset0:20 offset1:215
	ds_read_b64 v[20:21], v22 offset:3120
	ds_read_b64 v[24:25], v22 offset:8320
	;; [unrolled: 1-line block ×3, first 2 shown]
	s_movk_i32 s0, 0x41
	v_cmp_gt_u32_e64 s[0:1], s0, v32
	s_and_saveexec_b64 s[2:3], s[0:1]
	s_cbranch_execz .LBB0_15
; %bb.14:
	ds_read_b64 v[18:19], v22 offset:4680
	ds_read_b64 v[16:17], v22 offset:9880
	;; [unrolled: 1-line block ×3, first 2 shown]
.LBB0_15:
	s_or_b64 exec, exec, s[2:3]
	s_and_saveexec_b64 s[2:3], vcc
	s_cbranch_execz .LBB0_18
; %bb.16:
	v_add_u32_e32 v45, 0x186, v32
	v_lshlrev_b32_e32 v22, 1, v45
	v_mov_b32_e32 v23, 0
	v_lshlrev_b64 v[29:30], 3, v[22:23]
	v_mov_b32_e32 v31, s9
	v_add_co_u32_e32 v22, vcc, s8, v29
	v_addc_co_u32_e32 v30, vcc, v31, v30, vcc
	v_add_co_u32_e32 v29, vcc, 0x1000, v22
	v_addc_co_u32_e32 v30, vcc, 0, v30, vcc
	v_lshlrev_b32_e32 v22, 1, v28
	global_load_dwordx4 v[33:36], v[29:30], off offset:1000
	v_lshlrev_b64 v[29:30], 3, v[22:23]
	s_movk_i32 s2, 0x1000
	v_add_co_u32_e32 v22, vcc, s8, v29
	v_addc_co_u32_e32 v30, vcc, v31, v30, vcc
	v_add_co_u32_e32 v29, vcc, s2, v22
	v_addc_co_u32_e32 v30, vcc, 0, v30, vcc
	v_lshlrev_b32_e32 v22, 1, v32
	global_load_dwordx4 v[37:40], v[29:30], off offset:1000
	v_lshlrev_b64 v[29:30], 3, v[22:23]
	s_movk_i32 s3, 0x514
	v_add_co_u32_e32 v22, vcc, s8, v29
	v_addc_co_u32_e32 v30, vcc, v31, v30, vcc
	v_add_co_u32_e32 v29, vcc, s2, v22
	v_addc_co_u32_e32 v30, vcc, 0, v30, vcc
	global_load_dwordx4 v[41:44], v[29:30], off offset:1000
	s_waitcnt vmcnt(2) lgkmcnt(0)
	v_mul_f32_e32 v22, v35, v27
	v_mul_f32_e32 v29, v33, v25
	;; [unrolled: 1-line block ×4, first 2 shown]
	v_fmac_f32_e32 v22, v36, v26
	v_fmac_f32_e32 v29, v34, v24
	v_fma_f32 v24, v33, v24, -v25
	v_fma_f32 v25, v35, v26, -v27
	v_add_f32_e32 v27, v20, v24
	v_add_f32_e32 v33, v22, v29
	s_waitcnt vmcnt(1)
	v_mul_f32_e32 v30, v38, v11
	v_mul_f32_e32 v31, v40, v7
	;; [unrolled: 1-line block ×4, first 2 shown]
	v_fma_f32 v10, v37, v10, -v30
	v_fma_f32 v26, v39, v6, -v31
	v_sub_f32_e32 v30, v24, v25
	v_add_f32_e32 v24, v25, v24
	v_fmac_f32_e32 v38, v37, v11
	v_fmac_f32_e32 v40, v39, v7
	v_add_f32_e32 v11, v21, v29
	s_waitcnt vmcnt(0)
	v_mul_f32_e32 v6, v42, v9
	v_mul_f32_e32 v7, v44, v5
	v_sub_f32_e32 v34, v10, v26
	v_add_f32_e32 v36, v10, v26
	v_add_f32_e32 v10, v2, v10
	v_fma_f32 v21, -0.5, v33, v21
	v_fmac_f32_e32 v20, -0.5, v24
	v_mul_f32_e32 v31, v42, v8
	v_sub_f32_e32 v29, v29, v22
	v_fma_f32 v39, v41, v8, -v6
	v_fma_f32 v42, v43, v4, -v7
	v_add_f32_e32 v7, v22, v11
	v_add_f32_e32 v8, v10, v26
	v_mov_b32_e32 v11, v21
	v_mov_b32_e32 v10, v20
	v_mul_f32_e32 v33, v44, v4
	v_fmac_f32_e32 v31, v41, v9
	v_fmac_f32_e32 v21, 0xbf5db3d7, v30
	;; [unrolled: 1-line block ×6, first 2 shown]
	v_mad_u64_u32 v[29:30], s[4:5], s12, v32, 0
	v_add_f32_e32 v4, v31, v33
	v_add_f32_e32 v35, v38, v40
	v_fma_f32 v5, -0.5, v4, v1
	v_sub_f32_e32 v37, v38, v40
	v_add_f32_e32 v38, v3, v38
	v_add_f32_e32 v6, v25, v27
	v_fma_f32 v3, -0.5, v35, v3
	v_fma_f32 v2, -0.5, v36, v2
	v_sub_f32_e32 v22, v39, v42
	v_mov_b32_e32 v27, v5
	v_mov_b32_e32 v25, v3
	;; [unrolled: 1-line block ×3, first 2 shown]
	v_fmac_f32_e32 v2, 0x3f5db3d7, v37
	v_fmac_f32_e32 v27, 0x3f5db3d7, v22
	;; [unrolled: 1-line block ×3, first 2 shown]
	v_add_f32_e32 v22, v1, v31
	v_mov_b32_e32 v1, v30
	v_fmac_f32_e32 v3, 0xbf5db3d7, v34
	v_fmac_f32_e32 v25, 0x3f5db3d7, v34
	v_add_f32_e32 v4, v39, v42
	v_sub_f32_e32 v34, v31, v33
	v_mad_u64_u32 v[30:31], s[4:5], s13, v32, v[1:2]
	v_fma_f32 v4, -0.5, v4, v0
	v_mov_b32_e32 v26, v4
	v_add_f32_e32 v0, v0, v39
	v_fmac_f32_e32 v26, 0xbf5db3d7, v34
	v_fmac_f32_e32 v4, 0x3f5db3d7, v34
	v_add_f32_e32 v34, v22, v33
	v_add_f32_e32 v33, v0, v42
	v_mov_b32_e32 v1, s15
	v_add_co_u32_e32 v0, vcc, s14, v12
	v_add_u32_e32 v31, 0x28a, v32
	v_addc_co_u32_e32 v1, vcc, v1, v13, vcc
	v_lshlrev_b64 v[12:13], 3, v[29:30]
	v_mad_u64_u32 v[29:30], s[4:5], s12, v31, 0
	v_add_co_u32_e32 v12, vcc, v0, v12
	v_mov_b32_e32 v22, v30
	v_mad_u64_u32 v[30:31], s[4:5], s13, v31, v[22:23]
	v_add_u32_e32 v31, 0x514, v32
	v_addc_co_u32_e32 v13, vcc, v1, v13, vcc
	v_mad_u64_u32 v[35:36], s[4:5], s12, v31, 0
	global_store_dwordx2 v[12:13], v[33:34], off
	v_lshlrev_b64 v[12:13], 3, v[29:30]
	v_mov_b32_e32 v22, v36
	v_add_co_u32_e32 v12, vcc, v0, v12
	v_addc_co_u32_e32 v13, vcc, v1, v13, vcc
	v_mad_u64_u32 v[29:30], s[4:5], s13, v31, v[22:23]
	global_store_dwordx2 v[12:13], v[4:5], off
	v_mad_u64_u32 v[12:13], s[4:5], s12, v28, 0
	v_mov_b32_e32 v36, v29
	v_add_u32_e32 v22, 0x34d, v32
	v_mad_u64_u32 v[28:29], s[4:5], s13, v28, v[13:14]
	v_lshlrev_b64 v[4:5], 3, v[35:36]
	v_mad_u64_u32 v[29:30], s[4:5], s12, v22, 0
	v_add_co_u32_e32 v4, vcc, v0, v4
	v_addc_co_u32_e32 v5, vcc, v1, v5, vcc
	v_mov_b32_e32 v13, v28
	global_store_dwordx2 v[4:5], v[26:27], off
	v_lshlrev_b64 v[4:5], 3, v[12:13]
	v_mov_b32_e32 v12, v30
	v_mad_u64_u32 v[12:13], s[4:5], s13, v22, v[12:13]
	v_add_co_u32_e32 v4, vcc, v0, v4
	v_add_f32_e32 v9, v38, v40
	v_addc_co_u32_e32 v5, vcc, v1, v5, vcc
	v_mov_b32_e32 v30, v12
	v_add_u32_e32 v12, 0x5d7, v32
	global_store_dwordx2 v[4:5], v[8:9], off
	v_mad_u64_u32 v[8:9], s[4:5], s12, v12, 0
	s_mov_b32 s4, 0xc9a633fd
	v_mul_hi_u32 v22, v45, s4
	v_mad_u64_u32 v[12:13], s[4:5], s13, v12, v[9:10]
	v_lshlrev_b64 v[4:5], 3, v[29:30]
	v_lshrrev_b32_e32 v9, 9, v22
	v_mad_u32_u24 v13, v9, s3, v45
	v_mad_u64_u32 v[26:27], s[4:5], s12, v13, 0
	v_add_co_u32_e32 v4, vcc, v0, v4
	v_addc_co_u32_e32 v5, vcc, v1, v5, vcc
	global_store_dwordx2 v[4:5], v[2:3], off
	v_mov_b32_e32 v4, v27
	v_mad_u64_u32 v[4:5], s[4:5], s13, v13, v[4:5]
	v_mov_b32_e32 v9, v12
	v_lshlrev_b64 v[2:3], 3, v[8:9]
	v_add_u32_e32 v8, 0x28a, v13
	v_mov_b32_e32 v27, v4
	v_mad_u64_u32 v[4:5], s[4:5], s12, v8, 0
	v_add_co_u32_e32 v2, vcc, v0, v2
	v_mad_u64_u32 v[8:9], s[4:5], s13, v8, v[5:6]
	v_fmac_f32_e32 v24, 0xbf5db3d7, v37
	v_addc_co_u32_e32 v3, vcc, v1, v3, vcc
	v_add_u32_e32 v9, 0x514, v13
	global_store_dwordx2 v[2:3], v[24:25], off
	v_lshlrev_b64 v[2:3], 3, v[26:27]
	v_mad_u64_u32 v[12:13], s[4:5], s12, v9, 0
	v_add_co_u32_e32 v2, vcc, v0, v2
	v_addc_co_u32_e32 v3, vcc, v1, v3, vcc
	v_mov_b32_e32 v5, v8
	global_store_dwordx2 v[2:3], v[6:7], off
	v_lshlrev_b64 v[2:3], 3, v[4:5]
	v_mov_b32_e32 v4, v13
	v_mad_u64_u32 v[4:5], s[4:5], s13, v9, v[4:5]
	v_add_co_u32_e32 v2, vcc, v0, v2
	v_addc_co_u32_e32 v3, vcc, v1, v3, vcc
	v_mov_b32_e32 v13, v4
	global_store_dwordx2 v[2:3], v[20:21], off
	v_lshlrev_b64 v[2:3], 3, v[12:13]
	v_add_co_u32_e32 v2, vcc, v0, v2
	v_addc_co_u32_e32 v3, vcc, v1, v3, vcc
	global_store_dwordx2 v[2:3], v[10:11], off
	s_and_b64 exec, exec, s[0:1]
	s_cbranch_execz .LBB0_18
; %bb.17:
	v_add_u32_e32 v12, 0x249, v32
	v_add_u32_e32 v2, 0xffffffbf, v32
	v_cndmask_b32_e64 v2, v2, v12, s[0:1]
	v_lshlrev_b32_e32 v22, 1, v2
	v_lshlrev_b64 v[2:3], 3, v[22:23]
	v_mov_b32_e32 v4, s9
	v_add_co_u32_e32 v2, vcc, s8, v2
	v_addc_co_u32_e32 v3, vcc, v4, v3, vcc
	v_add_co_u32_e32 v2, vcc, s2, v2
	v_addc_co_u32_e32 v3, vcc, 0, v3, vcc
	global_load_dwordx4 v[2:5], v[2:3], off offset:1000
	v_add_u32_e32 v20, 0x4d3, v32
	v_mad_u64_u32 v[6:7], s[0:1], s12, v12, 0
	v_mad_u64_u32 v[8:9], s[0:1], s12, v20, 0
	v_add_u32_e32 v22, 0x75d, v32
	v_mad_u64_u32 v[10:11], s[0:1], s12, v22, 0
	v_mad_u64_u32 v[12:13], s[0:1], s13, v12, v[7:8]
	;; [unrolled: 1-line block ×4, first 2 shown]
	v_mov_b32_e32 v7, v12
	v_lshlrev_b64 v[6:7], 3, v[6:7]
	v_mov_b32_e32 v9, v20
	v_lshlrev_b64 v[8:9], 3, v[8:9]
	v_add_co_u32_e32 v6, vcc, v0, v6
	v_mov_b32_e32 v11, v21
	v_addc_co_u32_e32 v7, vcc, v1, v7, vcc
	v_lshlrev_b64 v[10:11], 3, v[10:11]
	v_add_co_u32_e32 v8, vcc, v0, v8
	v_addc_co_u32_e32 v9, vcc, v1, v9, vcc
	v_add_co_u32_e32 v0, vcc, v0, v10
	v_addc_co_u32_e32 v1, vcc, v1, v11, vcc
	s_waitcnt vmcnt(0)
	v_mul_f32_e32 v10, v17, v3
	v_mul_f32_e32 v3, v16, v3
	;; [unrolled: 1-line block ×4, first 2 shown]
	v_fma_f32 v10, v16, v2, -v10
	v_fmac_f32_e32 v3, v17, v2
	v_fma_f32 v2, v14, v4, -v11
	v_fmac_f32_e32 v5, v15, v4
	v_add_f32_e32 v11, v10, v2
	v_add_f32_e32 v14, v3, v5
	;; [unrolled: 1-line block ×4, first 2 shown]
	v_fmac_f32_e32 v18, -0.5, v11
	v_fmac_f32_e32 v19, -0.5, v14
	v_sub_f32_e32 v12, v3, v5
	v_sub_f32_e32 v10, v10, v2
	v_add_f32_e32 v2, v4, v2
	v_add_f32_e32 v3, v13, v5
	v_mov_b32_e32 v4, v18
	v_mov_b32_e32 v5, v19
	v_fmac_f32_e32 v4, 0x3f5db3d7, v12
	v_fmac_f32_e32 v5, 0xbf5db3d7, v10
	;; [unrolled: 1-line block ×4, first 2 shown]
	global_store_dwordx2 v[6:7], v[2:3], off
	global_store_dwordx2 v[8:9], v[4:5], off
	;; [unrolled: 1-line block ×3, first 2 shown]
.LBB0_18:
	s_endpgm
	.section	.rodata,"a",@progbits
	.p2align	6, 0x0
	.amdhsa_kernel fft_rtc_fwd_len1950_factors_13_5_10_3_wgs_195_tpt_195_sp_ip_CI_sbrr_dirReg
		.amdhsa_group_segment_fixed_size 0
		.amdhsa_private_segment_fixed_size 0
		.amdhsa_kernarg_size 88
		.amdhsa_user_sgpr_count 6
		.amdhsa_user_sgpr_private_segment_buffer 1
		.amdhsa_user_sgpr_dispatch_ptr 0
		.amdhsa_user_sgpr_queue_ptr 0
		.amdhsa_user_sgpr_kernarg_segment_ptr 1
		.amdhsa_user_sgpr_dispatch_id 0
		.amdhsa_user_sgpr_flat_scratch_init 0
		.amdhsa_user_sgpr_private_segment_size 0
		.amdhsa_uses_dynamic_stack 0
		.amdhsa_system_sgpr_private_segment_wavefront_offset 0
		.amdhsa_system_sgpr_workgroup_id_x 1
		.amdhsa_system_sgpr_workgroup_id_y 0
		.amdhsa_system_sgpr_workgroup_id_z 0
		.amdhsa_system_sgpr_workgroup_info 0
		.amdhsa_system_vgpr_workitem_id 0
		.amdhsa_next_free_vgpr 107
		.amdhsa_next_free_sgpr 24
		.amdhsa_reserve_vcc 1
		.amdhsa_reserve_flat_scratch 0
		.amdhsa_float_round_mode_32 0
		.amdhsa_float_round_mode_16_64 0
		.amdhsa_float_denorm_mode_32 3
		.amdhsa_float_denorm_mode_16_64 3
		.amdhsa_dx10_clamp 1
		.amdhsa_ieee_mode 1
		.amdhsa_fp16_overflow 0
		.amdhsa_exception_fp_ieee_invalid_op 0
		.amdhsa_exception_fp_denorm_src 0
		.amdhsa_exception_fp_ieee_div_zero 0
		.amdhsa_exception_fp_ieee_overflow 0
		.amdhsa_exception_fp_ieee_underflow 0
		.amdhsa_exception_fp_ieee_inexact 0
		.amdhsa_exception_int_div_zero 0
	.end_amdhsa_kernel
	.text
.Lfunc_end0:
	.size	fft_rtc_fwd_len1950_factors_13_5_10_3_wgs_195_tpt_195_sp_ip_CI_sbrr_dirReg, .Lfunc_end0-fft_rtc_fwd_len1950_factors_13_5_10_3_wgs_195_tpt_195_sp_ip_CI_sbrr_dirReg
                                        ; -- End function
	.section	.AMDGPU.csdata,"",@progbits
; Kernel info:
; codeLenInByte = 8928
; NumSgprs: 28
; NumVgprs: 107
; ScratchSize: 0
; MemoryBound: 0
; FloatMode: 240
; IeeeMode: 1
; LDSByteSize: 0 bytes/workgroup (compile time only)
; SGPRBlocks: 3
; VGPRBlocks: 26
; NumSGPRsForWavesPerEU: 28
; NumVGPRsForWavesPerEU: 107
; Occupancy: 2
; WaveLimiterHint : 1
; COMPUTE_PGM_RSRC2:SCRATCH_EN: 0
; COMPUTE_PGM_RSRC2:USER_SGPR: 6
; COMPUTE_PGM_RSRC2:TRAP_HANDLER: 0
; COMPUTE_PGM_RSRC2:TGID_X_EN: 1
; COMPUTE_PGM_RSRC2:TGID_Y_EN: 0
; COMPUTE_PGM_RSRC2:TGID_Z_EN: 0
; COMPUTE_PGM_RSRC2:TIDIG_COMP_CNT: 0
	.type	__hip_cuid_a0ffe1cc8a3da2c9,@object ; @__hip_cuid_a0ffe1cc8a3da2c9
	.section	.bss,"aw",@nobits
	.globl	__hip_cuid_a0ffe1cc8a3da2c9
__hip_cuid_a0ffe1cc8a3da2c9:
	.byte	0                               ; 0x0
	.size	__hip_cuid_a0ffe1cc8a3da2c9, 1

	.ident	"AMD clang version 19.0.0git (https://github.com/RadeonOpenCompute/llvm-project roc-6.4.0 25133 c7fe45cf4b819c5991fe208aaa96edf142730f1d)"
	.section	".note.GNU-stack","",@progbits
	.addrsig
	.addrsig_sym __hip_cuid_a0ffe1cc8a3da2c9
	.amdgpu_metadata
---
amdhsa.kernels:
  - .args:
      - .actual_access:  read_only
        .address_space:  global
        .offset:         0
        .size:           8
        .value_kind:     global_buffer
      - .offset:         8
        .size:           8
        .value_kind:     by_value
      - .actual_access:  read_only
        .address_space:  global
        .offset:         16
        .size:           8
        .value_kind:     global_buffer
      - .actual_access:  read_only
        .address_space:  global
        .offset:         24
        .size:           8
        .value_kind:     global_buffer
      - .offset:         32
        .size:           8
        .value_kind:     by_value
      - .actual_access:  read_only
        .address_space:  global
        .offset:         40
        .size:           8
        .value_kind:     global_buffer
      - .actual_access:  read_only
        .address_space:  global
        .offset:         48
        .size:           8
        .value_kind:     global_buffer
      - .offset:         56
        .size:           4
        .value_kind:     by_value
      - .actual_access:  read_only
        .address_space:  global
        .offset:         64
        .size:           8
        .value_kind:     global_buffer
      - .actual_access:  read_only
        .address_space:  global
        .offset:         72
        .size:           8
        .value_kind:     global_buffer
      - .address_space:  global
        .offset:         80
        .size:           8
        .value_kind:     global_buffer
    .group_segment_fixed_size: 0
    .kernarg_segment_align: 8
    .kernarg_segment_size: 88
    .language:       OpenCL C
    .language_version:
      - 2
      - 0
    .max_flat_workgroup_size: 195
    .name:           fft_rtc_fwd_len1950_factors_13_5_10_3_wgs_195_tpt_195_sp_ip_CI_sbrr_dirReg
    .private_segment_fixed_size: 0
    .sgpr_count:     28
    .sgpr_spill_count: 0
    .symbol:         fft_rtc_fwd_len1950_factors_13_5_10_3_wgs_195_tpt_195_sp_ip_CI_sbrr_dirReg.kd
    .uniform_work_group_size: 1
    .uses_dynamic_stack: false
    .vgpr_count:     107
    .vgpr_spill_count: 0
    .wavefront_size: 64
amdhsa.target:   amdgcn-amd-amdhsa--gfx906
amdhsa.version:
  - 1
  - 2
...

	.end_amdgpu_metadata
